;; amdgpu-corpus repo=zjin-lcf/HeCBench kind=compiled arch=gfx90a opt=O3
	.text
	.amdgcn_target "amdgcn-amd-amdhsa--gfx90a"
	.amdhsa_code_object_version 6
	.protected	_Z13cuThomasBatchPKdS0_PdS1_ii ; -- Begin function _Z13cuThomasBatchPKdS0_PdS1_ii
	.globl	_Z13cuThomasBatchPKdS0_PdS1_ii
	.p2align	8
	.type	_Z13cuThomasBatchPKdS0_PdS1_ii,@function
_Z13cuThomasBatchPKdS0_PdS1_ii:         ; @_Z13cuThomasBatchPKdS0_PdS1_ii
; %bb.0:
	s_load_dword s0, s[4:5], 0x34
	s_load_dwordx2 s[2:3], s[4:5], 0x20
	s_waitcnt lgkmcnt(0)
	s_and_b32 s0, s0, 0xffff
	s_mul_i32 s6, s6, s0
	v_add_u32_e32 v0, s6, v0
	v_cmp_gt_i32_e32 vcc, s3, v0
	s_and_saveexec_b64 s[0:1], vcc
	s_cbranch_execz .LBB0_8
; %bb.1:
	s_load_dwordx8 s[4:11], s[4:5], 0x0
	v_ashrrev_i32_e32 v1, 31, v0
	v_lshlrev_b64 v[4:5], 3, v[0:1]
	s_add_i32 s0, s2, -1
	s_mul_i32 s12, s0, s3
	s_waitcnt lgkmcnt(0)
	v_mov_b32_e32 v1, s7
	v_add_co_u32_e32 v2, vcc, s6, v4
	v_addc_co_u32_e32 v3, vcc, v1, v5, vcc
	v_mov_b32_e32 v1, s9
	v_add_co_u32_e32 v12, vcc, s8, v4
	v_addc_co_u32_e32 v13, vcc, v1, v5, vcc
	v_mov_b32_e32 v1, s11
	v_add_co_u32_e32 v6, vcc, s10, v4
	global_load_dwordx2 v[10:11], v[2:3], off
	global_load_dwordx2 v[8:9], v[12:13], off
	v_addc_co_u32_e32 v7, vcc, v1, v5, vcc
	global_load_dwordx2 v[14:15], v[6:7], off
	v_add_u32_e32 v4, s12, v0
	s_cmp_le_i32 s12, s3
	s_waitcnt vmcnt(1)
	v_div_scale_f64 v[16:17], s[0:1], v[10:11], v[10:11], v[8:9]
	v_rcp_f64_e32 v[22:23], v[16:17]
	s_waitcnt vmcnt(0)
	v_div_scale_f64 v[20:21], s[0:1], v[10:11], v[10:11], v[14:15]
	v_rcp_f64_e32 v[24:25], v[20:21]
	v_fma_f64 v[28:29], -v[16:17], v[22:23], 1.0
	v_fmac_f64_e32 v[22:23], v[22:23], v[28:29]
	v_fma_f64 v[28:29], -v[16:17], v[22:23], 1.0
	v_fma_f64 v[30:31], -v[20:21], v[24:25], 1.0
	v_fmac_f64_e32 v[24:25], v[24:25], v[30:31]
	v_div_scale_f64 v[18:19], vcc, v[8:9], v[10:11], v[8:9]
	v_fma_f64 v[30:31], -v[20:21], v[24:25], 1.0
	v_fmac_f64_e32 v[22:23], v[22:23], v[28:29]
	v_div_scale_f64 v[26:27], s[0:1], v[14:15], v[10:11], v[14:15]
	v_fmac_f64_e32 v[24:25], v[24:25], v[30:31]
	v_mul_f64 v[28:29], v[18:19], v[22:23]
	v_mul_f64 v[30:31], v[26:27], v[24:25]
	v_fma_f64 v[16:17], -v[16:17], v[28:29], v[18:19]
	v_fma_f64 v[18:19], -v[20:21], v[30:31], v[26:27]
	v_div_fmas_f64 v[16:17], v[16:17], v[22:23], v[28:29]
	s_mov_b64 vcc, s[0:1]
	v_div_fixup_f64 v[8:9], v[16:17], v[10:11], v[8:9]
	v_div_fmas_f64 v[16:17], v[18:19], v[24:25], v[30:31]
	global_store_dwordx2 v[12:13], v[8:9], off
	v_div_fixup_f64 v[12:13], v[16:17], v[10:11], v[14:15]
	global_store_dwordx2 v[6:7], v[12:13], off
	s_cbranch_scc1 .LBB0_5
; %bb.2:
	v_add_u32_e32 v10, s3, v0
	s_ashr_i32 s1, s3, 31
	s_mov_b32 s0, s3
	v_ashrrev_i32_e32 v11, 31, v10
	s_lshl_b64 s[14:15], s[0:1], 3
	v_lshlrev_b64 v[10:11], 3, v[10:11]
	s_mov_b64 s[0:1], 0
	v_mov_b32_e32 v1, s7
	v_mov_b32_e32 v5, s5
	;; [unrolled: 1-line block ×6, first 2 shown]
.LBB0_3:                                ; =>This Inner Loop Header: Depth=1
	v_add_co_u32_e32 v20, vcc, s6, v10
	v_addc_co_u32_e32 v21, vcc, v1, v11, vcc
	v_add_co_u32_e32 v22, vcc, s4, v10
	v_addc_co_u32_e32 v23, vcc, v5, v11, vcc
	;; [unrolled: 2-line block ×3, first 2 shown]
	global_load_dwordx2 v[26:27], v[20:21], off
	global_load_dwordx2 v[28:29], v[22:23], off
	;; [unrolled: 1-line block ×3, first 2 shown]
	v_ashrrev_i32_e32 v15, 31, v14
	v_add_co_u32_e32 v20, vcc, s10, v10
	v_addc_co_u32_e32 v21, vcc, v17, v11, vcc
	v_lshlrev_b64 v[22:23], 3, v[14:15]
	v_add_co_u32_e32 v22, vcc, s8, v22
	v_addc_co_u32_e32 v23, vcc, v16, v23, vcc
	global_load_dwordx2 v[32:33], v[20:21], off
	v_add_u32_e32 v14, s3, v14
	v_add_u32_e32 v15, s3, v14
	s_waitcnt vmcnt(2)
	v_fma_f64 v[8:9], -v[28:29], v[8:9], v[26:27]
	s_waitcnt vmcnt(1)
	v_div_scale_f64 v[34:35], s[16:17], v[8:9], v[8:9], v[30:31]
	v_rcp_f64_e32 v[38:39], v[34:35]
	v_div_scale_f64 v[36:37], vcc, v[30:31], v[8:9], v[30:31]
	v_fma_f64 v[40:41], -v[34:35], v[38:39], 1.0
	v_fmac_f64_e32 v[38:39], v[38:39], v[40:41]
	v_fma_f64 v[40:41], -v[34:35], v[38:39], 1.0
	v_fmac_f64_e32 v[38:39], v[38:39], v[40:41]
	v_mul_f64 v[40:41], v[36:37], v[38:39]
	v_fma_f64 v[34:35], -v[34:35], v[40:41], v[36:37]
	v_div_fmas_f64 v[34:35], v[34:35], v[38:39], v[40:41]
	v_div_fixup_f64 v[8:9], v[34:35], v[8:9], v[30:31]
	global_store_dwordx2 v[24:25], v[8:9], off
	global_load_dwordx2 v[22:23], v[22:23], off
	s_waitcnt vmcnt(2)
	v_fma_f64 v[12:13], -v[28:29], v[12:13], v[32:33]
	v_add_co_u32_e32 v10, vcc, s14, v10
	v_addc_co_u32_e32 v11, vcc, v11, v18, vcc
	v_cmp_ge_i32_e32 vcc, v15, v4
	s_or_b64 s[0:1], vcc, s[0:1]
	s_waitcnt vmcnt(0)
	v_fma_f64 v[22:23], -v[28:29], v[22:23], v[26:27]
	v_div_scale_f64 v[24:25], s[16:17], v[22:23], v[22:23], v[12:13]
	v_rcp_f64_e32 v[26:27], v[24:25]
	v_div_scale_f64 v[28:29], vcc, v[12:13], v[22:23], v[12:13]
	v_fma_f64 v[30:31], -v[24:25], v[26:27], 1.0
	v_fmac_f64_e32 v[26:27], v[26:27], v[30:31]
	v_fma_f64 v[30:31], -v[24:25], v[26:27], 1.0
	v_fmac_f64_e32 v[26:27], v[26:27], v[30:31]
	v_mul_f64 v[30:31], v[28:29], v[26:27]
	v_fma_f64 v[24:25], -v[24:25], v[30:31], v[28:29]
	v_div_fmas_f64 v[24:25], v[24:25], v[26:27], v[30:31]
	v_div_fixup_f64 v[12:13], v[24:25], v[22:23], v[12:13]
	global_store_dwordx2 v[20:21], v[12:13], off
	s_andn2_b64 exec, exec, s[0:1]
	s_cbranch_execnz .LBB0_3
; %bb.4:
	s_or_b64 exec, exec, s[0:1]
.LBB0_5:
	s_ashr_i32 s13, s12, 31
	s_lshl_b64 s[0:1], s[12:13], 3
	v_ashrrev_i32_e32 v5, 31, v4
	v_mov_b32_e32 v1, s1
	v_add_co_u32_e32 v6, vcc, s0, v6
	v_addc_co_u32_e32 v7, vcc, v7, v1, vcc
	v_lshlrev_b64 v[10:11], 3, v[4:5]
	v_mov_b32_e32 v5, s5
	v_add_co_u32_e32 v10, vcc, s4, v10
	v_subrev_u32_e32 v4, s3, v4
	v_addc_co_u32_e32 v11, vcc, v5, v11, vcc
	v_ashrrev_i32_e32 v5, 31, v4
	v_lshlrev_b64 v[12:13], 3, v[4:5]
	v_mov_b32_e32 v5, s11
	v_add_co_u32_e32 v14, vcc, s10, v12
	v_addc_co_u32_e32 v15, vcc, v5, v13, vcc
	v_add_co_u32_e32 v2, vcc, s0, v2
	v_addc_co_u32_e32 v3, vcc, v3, v1, vcc
	v_mov_b32_e32 v1, s9
	v_add_co_u32_e32 v12, vcc, s8, v12
	v_addc_co_u32_e32 v13, vcc, v1, v13, vcc
	global_load_dwordx2 v[8:9], v[6:7], off
	s_nop 0
	global_load_dwordx2 v[10:11], v[10:11], off
	s_nop 0
	global_load_dwordx2 v[14:15], v[14:15], off
	s_waitcnt vmcnt(0)
	v_fma_f64 v[8:9], -v[10:11], v[14:15], v[8:9]
	global_load_dwordx2 v[2:3], v[2:3], off
	s_nop 0
	global_load_dwordx2 v[12:13], v[12:13], off
	s_waitcnt vmcnt(0)
	v_fma_f64 v[2:3], -v[10:11], v[12:13], v[2:3]
	v_div_scale_f64 v[10:11], s[0:1], v[2:3], v[2:3], v[8:9]
	v_rcp_f64_e32 v[12:13], v[10:11]
	v_div_scale_f64 v[14:15], vcc, v[8:9], v[2:3], v[8:9]
	v_fma_f64 v[16:17], -v[10:11], v[12:13], 1.0
	v_fmac_f64_e32 v[12:13], v[12:13], v[16:17]
	v_fma_f64 v[16:17], -v[10:11], v[12:13], 1.0
	v_fmac_f64_e32 v[12:13], v[12:13], v[16:17]
	v_mul_f64 v[16:17], v[14:15], v[12:13]
	v_fma_f64 v[10:11], -v[10:11], v[16:17], v[14:15]
	v_div_fmas_f64 v[10:11], v[10:11], v[12:13], v[16:17]
	v_div_fixup_f64 v[2:3], v[10:11], v[2:3], v[8:9]
	v_cmp_ge_i32_e32 vcc, v4, v0
	global_store_dwordx2 v[6:7], v[2:3], off
	s_and_b64 exec, exec, vcc
	s_cbranch_execz .LBB0_8
; %bb.6:
	s_add_i32 s0, s2, -2
	s_mul_i32 s2, s3, s0
	s_mov_b64 s[0:1], 0
	v_mov_b32_e32 v1, s9
	v_mov_b32_e32 v2, s11
	;; [unrolled: 1-line block ×3, first 2 shown]
.LBB0_7:                                ; =>This Inner Loop Header: Depth=1
	v_add_u32_e32 v4, s2, v3
	v_ashrrev_i32_e32 v5, 31, v4
	v_add_u32_e32 v6, s12, v3
	v_lshlrev_b64 v[4:5], 3, v[4:5]
	v_ashrrev_i32_e32 v7, 31, v6
	v_add_co_u32_e32 v8, vcc, s8, v4
	v_lshlrev_b64 v[6:7], 3, v[6:7]
	v_addc_co_u32_e32 v9, vcc, v1, v5, vcc
	v_add_co_u32_e32 v6, vcc, s10, v6
	v_addc_co_u32_e32 v7, vcc, v2, v7, vcc
	v_add_co_u32_e32 v4, vcc, s10, v4
	v_addc_co_u32_e32 v5, vcc, v2, v5, vcc
	global_load_dwordx2 v[10:11], v[8:9], off
	global_load_dwordx2 v[12:13], v[6:7], off
	;; [unrolled: 1-line block ×3, first 2 shown]
	v_subrev_u32_e32 v3, s3, v3
	v_add_u32_e32 v6, s2, v3
	v_cmp_lt_i32_e32 vcc, v6, v0
	s_or_b64 s[0:1], vcc, s[0:1]
	s_waitcnt vmcnt(0)
	v_fma_f64 v[6:7], -v[10:11], v[12:13], v[14:15]
	global_store_dwordx2 v[4:5], v[6:7], off
	s_andn2_b64 exec, exec, s[0:1]
	s_cbranch_execnz .LBB0_7
.LBB0_8:
	s_endpgm
	.section	.rodata,"a",@progbits
	.p2align	6, 0x0
	.amdhsa_kernel _Z13cuThomasBatchPKdS0_PdS1_ii
		.amdhsa_group_segment_fixed_size 0
		.amdhsa_private_segment_fixed_size 0
		.amdhsa_kernarg_size 296
		.amdhsa_user_sgpr_count 6
		.amdhsa_user_sgpr_private_segment_buffer 1
		.amdhsa_user_sgpr_dispatch_ptr 0
		.amdhsa_user_sgpr_queue_ptr 0
		.amdhsa_user_sgpr_kernarg_segment_ptr 1
		.amdhsa_user_sgpr_dispatch_id 0
		.amdhsa_user_sgpr_flat_scratch_init 0
		.amdhsa_user_sgpr_kernarg_preload_length 0
		.amdhsa_user_sgpr_kernarg_preload_offset 0
		.amdhsa_user_sgpr_private_segment_size 0
		.amdhsa_uses_dynamic_stack 0
		.amdhsa_system_sgpr_private_segment_wavefront_offset 0
		.amdhsa_system_sgpr_workgroup_id_x 1
		.amdhsa_system_sgpr_workgroup_id_y 0
		.amdhsa_system_sgpr_workgroup_id_z 0
		.amdhsa_system_sgpr_workgroup_info 0
		.amdhsa_system_vgpr_workitem_id 0
		.amdhsa_next_free_vgpr 42
		.amdhsa_next_free_sgpr 18
		.amdhsa_accum_offset 44
		.amdhsa_reserve_vcc 1
		.amdhsa_reserve_flat_scratch 0
		.amdhsa_float_round_mode_32 0
		.amdhsa_float_round_mode_16_64 0
		.amdhsa_float_denorm_mode_32 3
		.amdhsa_float_denorm_mode_16_64 3
		.amdhsa_dx10_clamp 1
		.amdhsa_ieee_mode 1
		.amdhsa_fp16_overflow 0
		.amdhsa_tg_split 0
		.amdhsa_exception_fp_ieee_invalid_op 0
		.amdhsa_exception_fp_denorm_src 0
		.amdhsa_exception_fp_ieee_div_zero 0
		.amdhsa_exception_fp_ieee_overflow 0
		.amdhsa_exception_fp_ieee_underflow 0
		.amdhsa_exception_fp_ieee_inexact 0
		.amdhsa_exception_int_div_zero 0
	.end_amdhsa_kernel
	.text
.Lfunc_end0:
	.size	_Z13cuThomasBatchPKdS0_PdS1_ii, .Lfunc_end0-_Z13cuThomasBatchPKdS0_PdS1_ii
                                        ; -- End function
	.section	.AMDGPU.csdata,"",@progbits
; Kernel info:
; codeLenInByte = 1140
; NumSgprs: 22
; NumVgprs: 42
; NumAgprs: 0
; TotalNumVgprs: 42
; ScratchSize: 0
; MemoryBound: 0
; FloatMode: 240
; IeeeMode: 1
; LDSByteSize: 0 bytes/workgroup (compile time only)
; SGPRBlocks: 2
; VGPRBlocks: 5
; NumSGPRsForWavesPerEU: 22
; NumVGPRsForWavesPerEU: 42
; AccumOffset: 44
; Occupancy: 8
; WaveLimiterHint : 0
; COMPUTE_PGM_RSRC2:SCRATCH_EN: 0
; COMPUTE_PGM_RSRC2:USER_SGPR: 6
; COMPUTE_PGM_RSRC2:TRAP_HANDLER: 0
; COMPUTE_PGM_RSRC2:TGID_X_EN: 1
; COMPUTE_PGM_RSRC2:TGID_Y_EN: 0
; COMPUTE_PGM_RSRC2:TGID_Z_EN: 0
; COMPUTE_PGM_RSRC2:TIDIG_COMP_CNT: 0
; COMPUTE_PGM_RSRC3_GFX90A:ACCUM_OFFSET: 10
; COMPUTE_PGM_RSRC3_GFX90A:TG_SPLIT: 0
	.text
	.p2alignl 6, 3212836864
	.fill 256, 4, 3212836864
	.type	__hip_cuid_5f1150b55e92c8f8,@object ; @__hip_cuid_5f1150b55e92c8f8
	.section	.bss,"aw",@nobits
	.globl	__hip_cuid_5f1150b55e92c8f8
__hip_cuid_5f1150b55e92c8f8:
	.byte	0                               ; 0x0
	.size	__hip_cuid_5f1150b55e92c8f8, 1

	.ident	"AMD clang version 19.0.0git (https://github.com/RadeonOpenCompute/llvm-project roc-6.4.0 25133 c7fe45cf4b819c5991fe208aaa96edf142730f1d)"
	.section	".note.GNU-stack","",@progbits
	.addrsig
	.addrsig_sym __hip_cuid_5f1150b55e92c8f8
	.amdgpu_metadata
---
amdhsa.kernels:
  - .agpr_count:     0
    .args:
      - .actual_access:  read_only
        .address_space:  global
        .offset:         0
        .size:           8
        .value_kind:     global_buffer
      - .actual_access:  read_only
        .address_space:  global
        .offset:         8
        .size:           8
        .value_kind:     global_buffer
      - .address_space:  global
        .offset:         16
        .size:           8
        .value_kind:     global_buffer
      - .address_space:  global
        .offset:         24
        .size:           8
        .value_kind:     global_buffer
      - .offset:         32
        .size:           4
        .value_kind:     by_value
      - .offset:         36
        .size:           4
        .value_kind:     by_value
      - .offset:         40
        .size:           4
        .value_kind:     hidden_block_count_x
      - .offset:         44
        .size:           4
        .value_kind:     hidden_block_count_y
      - .offset:         48
        .size:           4
        .value_kind:     hidden_block_count_z
      - .offset:         52
        .size:           2
        .value_kind:     hidden_group_size_x
      - .offset:         54
        .size:           2
        .value_kind:     hidden_group_size_y
      - .offset:         56
        .size:           2
        .value_kind:     hidden_group_size_z
      - .offset:         58
        .size:           2
        .value_kind:     hidden_remainder_x
      - .offset:         60
        .size:           2
        .value_kind:     hidden_remainder_y
      - .offset:         62
        .size:           2
        .value_kind:     hidden_remainder_z
      - .offset:         80
        .size:           8
        .value_kind:     hidden_global_offset_x
      - .offset:         88
        .size:           8
        .value_kind:     hidden_global_offset_y
      - .offset:         96
        .size:           8
        .value_kind:     hidden_global_offset_z
      - .offset:         104
        .size:           2
        .value_kind:     hidden_grid_dims
    .group_segment_fixed_size: 0
    .kernarg_segment_align: 8
    .kernarg_segment_size: 296
    .language:       OpenCL C
    .language_version:
      - 2
      - 0
    .max_flat_workgroup_size: 1024
    .name:           _Z13cuThomasBatchPKdS0_PdS1_ii
    .private_segment_fixed_size: 0
    .sgpr_count:     22
    .sgpr_spill_count: 0
    .symbol:         _Z13cuThomasBatchPKdS0_PdS1_ii.kd
    .uniform_work_group_size: 1
    .uses_dynamic_stack: false
    .vgpr_count:     42
    .vgpr_spill_count: 0
    .wavefront_size: 64
amdhsa.target:   amdgcn-amd-amdhsa--gfx90a
amdhsa.version:
  - 1
  - 2
...

	.end_amdgpu_metadata
